;; amdgpu-corpus repo=ROCm/rocFFT kind=compiled arch=gfx906 opt=O3
	.text
	.amdgcn_target "amdgcn-amd-amdhsa--gfx906"
	.amdhsa_code_object_version 6
	.protected	fft_rtc_back_len169_factors_13_13_wgs_156_tpt_13_dp_op_CI_CI_sbrc_xy_z_diag_dirReg ; -- Begin function fft_rtc_back_len169_factors_13_13_wgs_156_tpt_13_dp_op_CI_CI_sbrc_xy_z_diag_dirReg
	.globl	fft_rtc_back_len169_factors_13_13_wgs_156_tpt_13_dp_op_CI_CI_sbrc_xy_z_diag_dirReg
	.p2align	8
	.type	fft_rtc_back_len169_factors_13_13_wgs_156_tpt_13_dp_op_CI_CI_sbrc_xy_z_diag_dirReg,@function
fft_rtc_back_len169_factors_13_13_wgs_156_tpt_13_dp_op_CI_CI_sbrc_xy_z_diag_dirReg: ; @fft_rtc_back_len169_factors_13_13_wgs_156_tpt_13_dp_op_CI_CI_sbrc_xy_z_diag_dirReg
; %bb.0:
	s_load_dwordx8 s[8:15], s[4:5], 0x0
	v_mov_b32_e32 v50, 0
	s_mov_b32 s28, 0x1ea71119
	s_mov_b32 s34, 0x24c2f84
	;; [unrolled: 1-line block ×3, first 2 shown]
	s_waitcnt lgkmcnt(0)
	s_load_dwordx4 s[0:3], s[12:13], 0x8
	s_mov_b32 s13, 0
	s_mov_b32 s35, 0xbfe5384d
	;; [unrolled: 1-line block ×4, first 2 shown]
	s_waitcnt lgkmcnt(0)
	s_add_i32 s1, s2, -1
	s_mul_hi_u32 s1, s1, 0xaaaaaaab
	s_lshr_b32 s1, s1, 3
	s_add_i32 s1, s1, 1
	s_mul_i32 s7, s1, s0
	v_cvt_f32_u32_e32 v1, s7
	s_load_dwordx4 s[0:3], s[4:5], 0x58
	s_load_dwordx2 s[20:21], s[4:5], 0x20
	s_sub_i32 s5, 0, s7
	s_load_dwordx4 s[16:19], s[14:15], 0x0
	s_load_dword s4, s[14:15], 0x10
	v_rcp_iflag_f32_e32 v2, v1
	v_mul_u32_u24_e32 v1, 0x184, v0
	v_lshrrev_b32_e32 v1, 16, v1
                                        ; kill: killed $sgpr20 killed $sgpr21
	s_mov_b32 s40, 0xd0032e0c
	v_mul_f32_e32 v2, 0x4f7ffffe, v2
	v_cvt_u32_f32_e32 v2, v2
	s_waitcnt lgkmcnt(0)
	v_mul_lo_u32 v49, s4, v1
	s_mov_b32 s25, 0xbfd6b1d8
	s_mov_b32 s49, 0xbfcea1e5
	v_readfirstlane_b32 s12, v2
	s_mul_i32 s5, s5, s12
	s_mul_hi_u32 s5, s12, s5
	s_add_i32 s12, s12, s5
	s_mul_hi_u32 s5, s6, s12
	s_mul_i32 s12, s5, s7
	s_sub_i32 s12, s6, s12
	s_add_i32 s19, s5, 1
	s_sub_i32 s22, s12, s7
	s_cmp_ge_u32 s12, s7
	s_cselect_b32 s5, s19, s5
	s_cselect_b32 s12, s22, s12
	s_add_i32 s19, s5, 1
	s_cmp_ge_u32 s12, s7
	s_cselect_b32 s50, s19, s5
	s_mul_i32 s5, s50, s7
	s_sub_i32 s5, s6, s5
	s_mul_hi_u32 s6, s5, 0x4ec4ec4f
	s_lshr_b32 s6, s6, 2
	s_mul_i32 s7, s6, 13
	s_sub_i32 s33, s5, s7
	s_add_i32 s6, s6, s33
	s_mul_hi_u32 s5, s6, 0x60f25deb
	s_lshr_b32 s5, s5, 6
	s_mulk_i32 s5, 0xa9
	s_mul_i32 s33, s33, 12
	s_sub_i32 s51, s6, s5
	s_mul_i32 s7, s33, s4
	s_mul_i32 s5, s51, s18
	s_lshl_b64 s[10:11], s[10:11], 3
	s_add_i32 s12, s5, s7
	s_add_u32 s6, s14, s10
	s_addc_u32 s7, s15, s11
	s_load_dwordx2 s[6:7], s[6:7], 0x0
	v_mul_lo_u16_e32 v2, 0xa9, v1
	v_sub_u16_e32 v2, v0, v2
	v_mad_u64_u32 v[3:4], s[14:15], s16, v2, 0
	s_waitcnt lgkmcnt(0)
	s_mul_i32 s5, s7, s50
	s_mul_hi_u32 s7, s6, s50
	s_add_i32 s7, s7, s5
	s_add_u32 s10, s20, s10
	s_addc_u32 s11, s21, s11
	s_load_dwordx2 s[10:11], s[10:11], 0x0
	v_mad_u64_u32 v[4:5], s[14:15], s17, v2, v[4:5]
	s_mul_i32 s6, s6, s50
	s_lshl_b64 s[6:7], s[6:7], 4
	s_waitcnt lgkmcnt(0)
	s_mul_i32 s5, s11, s50
	s_mul_hi_u32 s11, s10, s50
	v_lshlrev_b64 v[5:6], 4, v[3:4]
	v_add_u16_e32 v4, 0x9c, v0
	s_add_i32 s11, s11, s5
	v_mul_u32_u24_e32 v3, 0x184, v4
	s_add_u32 s5, s0, s6
	v_lshrrev_b32_e32 v3, 16, v3
	s_addc_u32 s6, s1, s7
	s_lshl_b64 s[0:1], s[12:13], 4
	v_mul_lo_u16_e32 v7, 0xa9, v3
	s_add_u32 s0, s5, s0
	v_sub_u16_e32 v4, v4, v7
	s_addc_u32 s1, s6, s1
	v_mad_u64_u32 v[7:8], s[6:7], s16, v4, 0
	v_mov_b32_e32 v9, s1
	v_add_co_u32_e32 v10, vcc, s0, v5
	v_addc_co_u32_e32 v11, vcc, v9, v6, vcc
	v_mad_u64_u32 v[8:9], s[6:7], s17, v4, v[8:9]
	v_lshlrev_b64 v[5:6], 4, v[49:50]
	v_mul_lo_u32 v49, s4, v3
	v_add_co_u32_e32 v17, vcc, v10, v5
	v_addc_co_u32_e32 v18, vcc, v11, v6, vcc
	v_lshlrev_b64 v[5:6], 4, v[7:8]
	v_mov_b32_e32 v7, s1
	v_add_co_u32_e32 v8, vcc, s0, v5
	v_addc_co_u32_e32 v7, vcc, v7, v6, vcc
	v_lshlrev_b64 v[5:6], 4, v[49:50]
	v_mul_lo_u16_e32 v2, 12, v2
	v_add_co_u32_e32 v19, vcc, v8, v5
	v_addc_co_u32_e32 v20, vcc, v7, v6, vcc
	v_add_u16_e32 v7, 0x138, v0
	v_add_u16_e32 v8, 0x1d4, v0
	v_mul_u32_u24_e32 v5, 0x184, v7
	v_mul_u32_u24_e32 v6, 0x184, v8
	v_lshrrev_b32_e32 v5, 16, v5
	v_lshrrev_b32_e32 v6, 16, v6
	v_mul_lo_u16_e32 v9, 0xa9, v5
	v_mul_lo_u16_e32 v10, 0xa9, v6
	v_sub_u16_e32 v7, v7, v9
	v_sub_u16_e32 v8, v8, v10
	v_mad_u64_u32 v[21:22], s[6:7], s16, v7, 0
	v_mad_u64_u32 v[23:24], s[6:7], s16, v8, 0
	global_load_dwordx4 v[9:12], v[17:18], off
	global_load_dwordx4 v[13:16], v[19:20], off
	v_mov_b32_e32 v17, v22
	v_mov_b32_e32 v18, v24
	v_mad_u64_u32 v[19:20], s[6:7], s17, v7, v[17:18]
	v_mul_lo_u32 v49, s4, v5
	v_or_b32_e32 v1, v2, v1
	v_mad_u64_u32 v[17:18], s[6:7], s17, v8, v[18:19]
	v_mov_b32_e32 v22, v19
	v_lshlrev_b64 v[18:19], 4, v[21:22]
	v_lshlrev_b64 v[20:21], 4, v[49:50]
	v_mov_b32_e32 v22, s1
	v_add_co_u32_e32 v18, vcc, s0, v18
	v_addc_co_u32_e32 v19, vcc, v22, v19, vcc
	v_add_co_u32_e32 v25, vcc, v18, v20
	v_add_u16_e32 v20, 0x270, v0
	v_addc_co_u32_e32 v26, vcc, v19, v21, vcc
	v_mul_u32_u24_e32 v21, 0x184, v20
	v_lshrrev_b32_e32 v65, 16, v21
	v_mul_lo_u16_e32 v21, 0xa9, v65
	v_sub_u16_e32 v66, v20, v21
	v_mov_b32_e32 v24, v17
	v_mad_u64_u32 v[27:28], s[6:7], s16, v66, 0
	v_lshlrev_b64 v[17:18], 4, v[23:24]
	v_mul_lo_u32 v49, s4, v6
	v_mov_b32_e32 v19, s1
	v_add_co_u32_e32 v20, vcc, s0, v17
	v_addc_co_u32_e32 v21, vcc, v19, v18, vcc
	v_mov_b32_e32 v19, v28
	v_mad_u64_u32 v[28:29], s[6:7], s17, v66, v[19:20]
	v_lshlrev_b64 v[17:18], 4, v[49:50]
	v_mul_lo_u32 v49, s4, v65
	v_add_co_u32_e32 v29, vcc, v20, v17
	v_addc_co_u32_e32 v30, vcc, v21, v18, vcc
	global_load_dwordx4 v[17:20], v[25:26], off
	global_load_dwordx4 v[21:24], v[29:30], off
	v_lshlrev_b64 v[25:26], 4, v[27:28]
	v_add_u16_e32 v27, 0x30c, v0
	v_mul_u32_u24_e32 v28, 0xc1f, v27
	v_lshrrev_b32_e32 v67, 19, v28
	v_mul_lo_u16_e32 v28, 0xa9, v67
	v_sub_u16_e32 v68, v27, v28
	v_mad_u64_u32 v[27:28], s[6:7], s16, v68, 0
	v_mov_b32_e32 v29, s1
	v_add_co_u32_e32 v30, vcc, s0, v25
	v_addc_co_u32_e32 v31, vcc, v29, v26, vcc
	v_mad_u64_u32 v[28:29], s[6:7], s17, v68, v[28:29]
	v_lshlrev_b64 v[25:26], 4, v[49:50]
	v_mul_lo_u32 v49, s4, v67
	v_add_co_u32_e32 v33, vcc, v30, v25
	v_addc_co_u32_e32 v34, vcc, v31, v26, vcc
	v_lshlrev_b64 v[25:26], 4, v[27:28]
	v_add_u16_e32 v28, 0x3a8, v0
	v_mul_u32_u24_e32 v29, 0xc1f, v28
	v_lshrrev_b32_e32 v69, 19, v29
	v_mul_lo_u16_e32 v29, 0xa9, v69
	v_sub_u16_e32 v70, v28, v29
	v_mad_u64_u32 v[35:36], s[6:7], s16, v70, 0
	v_mov_b32_e32 v27, s1
	v_add_co_u32_e32 v28, vcc, s0, v25
	v_addc_co_u32_e32 v29, vcc, v27, v26, vcc
	v_mov_b32_e32 v27, v36
	v_mad_u64_u32 v[36:37], s[6:7], s17, v70, v[27:28]
	v_lshlrev_b64 v[25:26], 4, v[49:50]
	v_mul_lo_u32 v49, s4, v69
	v_add_co_u32_e32 v37, vcc, v28, v25
	v_addc_co_u32_e32 v38, vcc, v29, v26, vcc
	global_load_dwordx4 v[25:28], v[33:34], off
	global_load_dwordx4 v[29:32], v[37:38], off
	v_lshlrev_b64 v[33:34], 4, v[35:36]
	v_add_u16_e32 v35, 0x444, v0
	v_mul_u32_u24_e32 v36, 0xc1f, v35
	v_lshrrev_b32_e32 v71, 19, v36
	v_mul_lo_u16_e32 v36, 0xa9, v71
	v_sub_u16_e32 v72, v35, v36
	v_mad_u64_u32 v[35:36], s[6:7], s16, v72, 0
	v_mov_b32_e32 v37, s1
	v_add_co_u32_e32 v38, vcc, s0, v33
	v_addc_co_u32_e32 v39, vcc, v37, v34, vcc
	v_mad_u64_u32 v[36:37], s[6:7], s17, v72, v[36:37]
	v_lshlrev_b64 v[33:34], 4, v[49:50]
	v_mul_lo_u32 v49, s4, v71
	v_add_co_u32_e32 v41, vcc, v38, v33
	v_addc_co_u32_e32 v42, vcc, v39, v34, vcc
	v_lshlrev_b64 v[33:34], 4, v[35:36]
	v_add_u16_e32 v36, 0x4e0, v0
	v_mul_u32_u24_e32 v37, 0xc1f, v36
	v_lshrrev_b32_e32 v73, 19, v37
	v_mul_lo_u16_e32 v37, 0xa9, v73
	v_sub_u16_e32 v74, v36, v37
	v_mad_u64_u32 v[43:44], s[6:7], s16, v74, 0
	;; [unrolled: 33-line block ×3, first 2 shown]
	v_mov_b32_e32 v43, s1
	v_add_co_u32_e32 v44, vcc, s0, v41
	v_addc_co_u32_e32 v45, vcc, v43, v42, vcc
	v_mov_b32_e32 v43, v54
	v_mad_u64_u32 v[54:55], s[6:7], s17, v78, v[43:44]
	v_lshlrev_b64 v[41:42], 4, v[49:50]
	v_mul_lo_u32 v49, s4, v77
	v_add_co_u32_e32 v55, vcc, v44, v41
	v_addc_co_u32_e32 v56, vcc, v45, v42, vcc
	global_load_dwordx4 v[41:44], v[51:52], off
	global_load_dwordx4 v[45:48], v[55:56], off
	v_lshlrev_b64 v[51:52], 4, v[53:54]
	v_add_u16_e32 v53, 0x6b4, v0
	v_mul_u32_u24_e32 v54, 0xc1f, v53
	v_lshrrev_b32_e32 v79, 19, v54
	v_mul_lo_u16_e32 v54, 0xa9, v79
	v_sub_u16_e32 v80, v53, v54
	v_mad_u64_u32 v[53:54], s[6:7], s16, v80, 0
	v_mov_b32_e32 v55, s1
	v_add_co_u32_e32 v56, vcc, s0, v51
	v_addc_co_u32_e32 v57, vcc, v55, v52, vcc
	v_lshlrev_b64 v[51:52], 4, v[49:50]
	v_mov_b32_e32 v49, v54
	v_mad_u64_u32 v[54:55], s[6:7], s17, v80, v[49:50]
	v_add_co_u32_e32 v59, vcc, v56, v51
	v_addc_co_u32_e32 v60, vcc, v57, v52, vcc
	v_lshlrev_b64 v[51:52], 4, v[53:54]
	v_add_u16_e32 v54, 0x750, v0
	v_mul_u32_u24_e32 v55, 0xc1f, v54
	v_lshrrev_b32_e32 v81, 19, v55
	v_mul_lo_u16_e32 v55, 0xa9, v81
	v_sub_u16_e32 v82, v54, v55
	v_mul_lo_u32 v49, s4, v79
	v_mad_u64_u32 v[61:62], s[6:7], s16, v82, 0
	v_mov_b32_e32 v53, s1
	v_add_co_u32_e32 v54, vcc, s0, v51
	v_addc_co_u32_e32 v53, vcc, v53, v52, vcc
	v_lshlrev_b64 v[51:52], 4, v[49:50]
	v_mov_b32_e32 v49, v62
	v_mad_u64_u32 v[62:63], s[6:7], s17, v82, v[49:50]
	v_add_co_u32_e32 v63, vcc, v54, v51
	v_mul_lo_u32 v49, s4, v81
	v_addc_co_u32_e32 v64, vcc, v53, v52, vcc
	global_load_dwordx4 v[51:54], v[59:60], off
	global_load_dwordx4 v[55:58], v[63:64], off
	v_lshlrev_b64 v[59:60], 4, v[61:62]
	v_mov_b32_e32 v61, s1
	v_add_co_u32_e32 v62, vcc, s0, v59
	v_addc_co_u32_e32 v61, vcc, v61, v60, vcc
	v_lshlrev_b64 v[59:60], 4, v[49:50]
	v_mul_lo_u16_e32 v2, 12, v4
	v_add_co_u32_e32 v59, vcc, v62, v59
	v_addc_co_u32_e32 v60, vcc, v61, v60, vcc
	global_load_dwordx4 v[59:62], v[59:60], off
	v_and_b32_e32 v1, 0xffff, v1
	v_or_b32_e32 v2, v2, v3
	v_lshl_add_u32 v1, v1, 4, 0
	v_and_b32_e32 v2, 0xffff, v2
	v_lshl_add_u32 v2, v2, 4, 0
	s_waitcnt vmcnt(12)
	ds_write_b128 v1, v[9:12]
	s_waitcnt vmcnt(11)
	ds_write_b128 v2, v[13:16]
	v_mul_u32_u24_e32 v1, 0x1556, v0
	v_lshrrev_b32_e32 v86, 16, v1
	v_mul_lo_u16_e32 v1, 12, v86
	v_sub_u16_e32 v49, v0, v1
	v_mad_legacy_u16 v1, v7, 12, v5
	v_lshl_add_u32 v1, v1, 4, 0
	s_waitcnt vmcnt(10)
	ds_write_b128 v1, v[17:20]
	v_mad_legacy_u16 v1, v8, 12, v6
	v_lshl_add_u32 v1, v1, 4, 0
	s_waitcnt vmcnt(9)
	ds_write_b128 v1, v[21:24]
	;; [unrolled: 4-line block ×8, first 2 shown]
	v_mad_legacy_u16 v1, v78, 12, v77
	v_lshl_add_u32 v1, v1, 4, 0
	v_lshlrev_b32_e32 v2, 4, v49
	s_load_dwordx4 s[4:7], s[20:21], 0x0
	s_waitcnt lgkmcnt(0)
	s_load_dword s7, s[20:21], 0x10
	s_mov_b32 s14, 0x42a4c3d2
	s_mov_b32 s15, 0xbfea55e2
	;; [unrolled: 1-line block ×26, first 2 shown]
	s_waitcnt vmcnt(2)
	ds_write_b128 v1, v[51:54]
	v_mad_legacy_u16 v1, v80, 12, v79
	v_lshl_add_u32 v1, v1, 4, 0
	s_waitcnt vmcnt(1)
	ds_write_b128 v1, v[55:58]
	v_mad_legacy_u16 v1, v82, 12, v81
	v_lshl_add_u32 v1, v1, 4, 0
	s_mov_b32 s44, s48
	s_movk_i32 s12, 0x900
	v_add_co_u32_e32 v49, vcc, s33, v49
	s_mul_i32 s10, s10, s50
	v_mul_u32_u24_e32 v0, 0x1a5, v0
	s_waitcnt vmcnt(0)
	ds_write_b128 v1, v[59:62]
	v_mul_u32_u24_e32 v1, 0xc0, v86
	v_add3_u32 v85, 0, v1, v2
	s_waitcnt lgkmcnt(0)
	s_barrier
	ds_read_b128 v[5:8], v85
	ds_read_b128 v[29:32], v85 offset:2496
	ds_read_b128 v[35:38], v85 offset:4992
	;; [unrolled: 1-line block ×9, first 2 shown]
	s_waitcnt lgkmcnt(8)
	v_add_f64 v[1:2], v[5:6], v[29:30]
	v_add_f64 v[3:4], v[7:8], v[31:32]
	ds_read_b128 v[55:58], v85 offset:24960
	ds_read_b128 v[39:42], v85 offset:27456
	;; [unrolled: 1-line block ×3, first 2 shown]
	s_waitcnt lgkmcnt(3)
	v_add_f64 v[47:48], v[27:28], v[53:54]
	s_waitcnt lgkmcnt(0)
	s_barrier
	v_add_f64 v[33:34], v[37:38], v[41:42]
	v_add_f64 v[1:2], v[1:2], v[35:36]
	;; [unrolled: 1-line block ×3, first 2 shown]
	v_add_f64 v[69:70], v[31:32], -v[61:62]
	v_add_f64 v[67:68], v[29:30], v[59:60]
	v_add_f64 v[65:66], v[31:32], v[61:62]
	v_add_f64 v[63:64], v[29:30], -v[59:60]
	v_add_f64 v[31:32], v[35:36], v[39:40]
	v_add_f64 v[29:30], v[35:36], -v[39:40]
	v_add_f64 v[1:2], v[1:2], v[43:44]
	v_add_f64 v[3:4], v[3:4], v[45:46]
	v_mul_f64 v[73:74], v[69:70], s[14:15]
	v_mul_f64 v[71:72], v[69:70], s[16:17]
	v_add_f64 v[35:36], v[37:38], -v[41:42]
	v_add_f64 v[37:38], v[43:44], v[55:56]
	v_mul_f64 v[79:80], v[65:66], s[20:21]
	v_mul_f64 v[83:84], v[65:66], s[24:25]
	v_add_f64 v[1:2], v[1:2], v[25:26]
	v_add_f64 v[3:4], v[3:4], v[27:28]
	v_add_f64 v[27:28], v[27:28], -v[53:54]
	v_mul_f64 v[95:96], v[65:66], s[40:41]
	v_mul_f64 v[109:110], v[35:36], s[14:15]
	v_fma_f64 v[93:94], v[63:64], s[26:27], v[79:80]
	v_fma_f64 v[79:80], v[63:64], s[18:19], v[79:80]
	v_add_f64 v[1:2], v[1:2], v[17:18]
	v_add_f64 v[3:4], v[3:4], v[19:20]
	v_fma_f64 v[97:98], v[63:64], s[38:39], v[83:84]
	v_fma_f64 v[99:100], v[63:64], s[22:23], v[83:84]
	;; [unrolled: 1-line block ×4, first 2 shown]
	v_add_f64 v[93:94], v[7:8], v[93:94]
	v_add_f64 v[119:120], v[7:8], v[79:80]
	;; [unrolled: 1-line block ×6, first 2 shown]
	v_mul_f64 v[99:100], v[27:28], s[22:23]
	v_add_f64 v[1:2], v[1:2], v[13:14]
	v_add_f64 v[3:4], v[3:4], v[15:16]
	;; [unrolled: 1-line block ×7, first 2 shown]
	v_add_f64 v[23:24], v[19:20], -v[23:24]
	v_add_f64 v[1:2], v[1:2], v[55:56]
	v_add_f64 v[3:4], v[3:4], v[57:58]
	;; [unrolled: 1-line block ×5, first 2 shown]
	v_add_f64 v[39:40], v[43:44], -v[55:56]
	v_add_f64 v[43:44], v[45:46], -v[57:58]
	v_add_f64 v[45:46], v[25:26], v[51:52]
	v_add_f64 v[25:26], v[25:26], -v[51:52]
	v_add_f64 v[51:52], v[17:18], v[21:22]
	v_add_f64 v[1:2], v[1:2], v[59:60]
	;; [unrolled: 1-line block ×3, first 2 shown]
	v_add_f64 v[21:22], v[17:18], -v[21:22]
	v_add_f64 v[59:60], v[11:12], v[15:16]
	v_add_f64 v[61:62], v[11:12], -v[15:16]
	v_mul_f64 v[11:12], v[69:70], s[18:19]
	v_fma_f64 v[15:16], v[67:68], s[28:29], v[73:74]
	v_fma_f64 v[17:18], v[67:68], s[28:29], -v[73:74]
	v_mul_f64 v[73:74], v[69:70], s[34:35]
	v_add_f64 v[57:58], v[9:10], v[13:14]
	v_add_f64 v[55:56], v[9:10], -v[13:14]
	v_fma_f64 v[9:10], v[67:68], s[0:1], v[71:72]
	v_fma_f64 v[13:14], v[67:68], s[0:1], -v[71:72]
	v_fma_f64 v[19:20], v[67:68], s[20:21], v[11:12]
	v_fma_f64 v[11:12], v[67:68], s[20:21], -v[11:12]
	v_mul_f64 v[71:72], v[69:70], s[22:23]
	v_mul_f64 v[69:70], v[69:70], s[48:49]
	v_fma_f64 v[77:78], v[67:68], s[40:41], v[73:74]
	v_fma_f64 v[87:88], v[67:68], s[40:41], -v[73:74]
	v_mul_f64 v[73:74], v[65:66], s[0:1]
	v_add_f64 v[9:10], v[5:6], v[9:10]
	v_add_f64 v[115:116], v[5:6], v[19:20]
	;; [unrolled: 1-line block ×3, first 2 shown]
	v_fma_f64 v[75:76], v[67:68], s[24:25], v[71:72]
	v_fma_f64 v[71:72], v[67:68], s[24:25], -v[71:72]
	v_fma_f64 v[89:90], v[67:68], s[36:37], v[69:70]
	v_fma_f64 v[91:92], v[67:68], s[36:37], -v[69:70]
	v_mul_f64 v[67:68], v[65:66], s[28:29]
	v_fma_f64 v[69:70], v[63:64], s[30:31], v[73:74]
	v_mul_f64 v[65:66], v[65:66], s[36:37]
	v_fma_f64 v[11:12], v[31:32], s[28:29], v[109:110]
	v_mul_f64 v[19:20], v[33:34], s[28:29]
	v_mul_f64 v[121:122], v[43:44], s[18:19]
	v_fma_f64 v[73:74], v[63:64], s[16:17], v[73:74]
	v_mul_f64 v[97:98], v[41:42], s[20:21]
	v_fma_f64 v[81:82], v[63:64], s[42:43], v[67:68]
	v_fma_f64 v[67:68], v[63:64], s[14:15], v[67:68]
	;; [unrolled: 1-line block ×4, first 2 shown]
	v_add_f64 v[63:64], v[7:8], v[69:70]
	v_add_f64 v[9:10], v[11:12], v[9:10]
	v_fma_f64 v[11:12], v[29:30], s[42:43], v[19:20]
	v_fma_f64 v[65:66], v[37:38], s[20:21], v[121:122]
	v_add_f64 v[123:124], v[5:6], v[75:76]
	v_add_f64 v[113:114], v[7:8], v[67:68]
	;; [unrolled: 1-line block ×5, first 2 shown]
	v_fma_f64 v[77:78], v[39:40], s[26:27], v[97:98]
	v_add_f64 v[11:12], v[11:12], v[63:64]
	v_add_f64 v[9:10], v[65:66], v[9:10]
	v_fma_f64 v[87:88], v[45:46], s[24:25], v[99:100]
	v_mul_f64 v[95:96], v[47:48], s[24:25]
	v_add_f64 v[63:64], v[5:6], v[89:90]
	v_mul_f64 v[89:90], v[23:24], s[34:35]
	v_add_f64 v[13:14], v[5:6], v[13:14]
	v_add_f64 v[107:108], v[7:8], v[73:74]
	;; [unrolled: 1-line block ×10, first 2 shown]
	v_fma_f64 v[11:12], v[31:32], s[28:29], -v[109:110]
	v_add_f64 v[9:10], v[87:88], v[9:10]
	v_fma_f64 v[87:88], v[25:26], s[38:39], v[95:96]
	v_mul_f64 v[91:92], v[53:54], s[40:41]
	v_fma_f64 v[101:102], v[51:52], s[40:41], v[89:90]
	v_mul_f64 v[103:104], v[61:62], s[48:49]
	v_add_f64 v[77:78], v[7:8], v[105:106]
	v_fma_f64 v[7:8], v[29:30], s[14:15], v[19:20]
	v_add_f64 v[11:12], v[11:12], v[13:14]
	v_fma_f64 v[13:14], v[37:38], s[20:21], -v[121:122]
	v_add_f64 v[5:6], v[87:88], v[5:6]
	v_fma_f64 v[19:20], v[21:22], s[46:47], v[91:92]
	v_add_f64 v[9:10], v[101:102], v[9:10]
	v_fma_f64 v[87:88], v[57:58], s[36:37], v[103:104]
	v_mul_f64 v[101:102], v[59:60], s[36:37]
	v_add_f64 v[7:8], v[7:8], v[107:108]
	v_fma_f64 v[97:98], v[39:40], s[18:19], v[97:98]
	v_add_f64 v[11:12], v[13:14], v[11:12]
	v_fma_f64 v[13:14], v[45:46], s[24:25], -v[99:100]
	v_add_f64 v[5:6], v[19:20], v[5:6]
	v_mul_f64 v[19:20], v[35:36], s[22:23]
	v_add_f64 v[9:10], v[87:88], v[9:10]
	v_fma_f64 v[87:88], v[55:56], s[44:45], v[101:102]
	v_mul_f64 v[99:100], v[33:34], s[24:25]
	v_add_f64 v[7:8], v[97:98], v[7:8]
	v_fma_f64 v[95:96], v[25:26], s[22:23], v[95:96]
	v_add_f64 v[13:14], v[13:14], v[11:12]
	v_fma_f64 v[89:90], v[51:52], s[40:41], -v[89:90]
	v_fma_f64 v[97:98], v[31:32], s[24:25], v[19:20]
	v_mul_f64 v[105:106], v[43:44], s[48:49]
	v_add_f64 v[11:12], v[87:88], v[5:6]
	v_fma_f64 v[5:6], v[29:30], s[38:39], v[99:100]
	v_mul_f64 v[87:88], v[41:42], s[36:37]
	v_add_f64 v[7:8], v[95:96], v[7:8]
	v_fma_f64 v[91:92], v[21:22], s[34:35], v[91:92]
	v_add_f64 v[13:14], v[89:90], v[13:14]
	v_add_f64 v[15:16], v[97:98], v[15:16]
	v_fma_f64 v[89:90], v[37:38], s[36:37], v[105:106]
	v_mul_f64 v[95:96], v[27:28], s[46:47]
	v_add_f64 v[5:6], v[5:6], v[111:112]
	v_fma_f64 v[97:98], v[39:40], s[44:45], v[87:88]
	v_mul_f64 v[107:108], v[47:48], s[40:41]
	v_add_f64 v[7:8], v[91:92], v[7:8]
	v_fma_f64 v[91:92], v[57:58], s[36:37], -v[103:104]
	v_fma_f64 v[101:102], v[55:56], s[48:49], v[101:102]
	v_add_f64 v[15:16], v[89:90], v[15:16]
	v_fma_f64 v[89:90], v[45:46], s[40:41], v[95:96]
	v_mul_f64 v[103:104], v[23:24], s[26:27]
	v_add_f64 v[97:98], v[97:98], v[5:6]
	v_fma_f64 v[109:110], v[25:26], s[34:35], v[107:108]
	v_mul_f64 v[111:112], v[53:54], s[20:21]
	v_add_f64 v[5:6], v[91:92], v[13:14]
	v_add_f64 v[7:8], v[101:102], v[7:8]
	v_fma_f64 v[13:14], v[31:32], s[24:25], -v[19:20]
	v_add_f64 v[15:16], v[89:90], v[15:16]
	v_fma_f64 v[19:20], v[51:52], s[20:21], v[103:104]
	v_mul_f64 v[89:90], v[61:62], s[30:31]
	v_add_f64 v[91:92], v[109:110], v[97:98]
	v_fma_f64 v[97:98], v[21:22], s[18:19], v[111:112]
	v_mul_f64 v[101:102], v[59:60], s[0:1]
	v_fma_f64 v[99:100], v[29:30], s[22:23], v[99:100]
	v_add_f64 v[13:14], v[13:14], v[17:18]
	v_fma_f64 v[17:18], v[37:38], s[36:37], -v[105:106]
	v_add_f64 v[15:16], v[19:20], v[15:16]
	v_fma_f64 v[19:20], v[57:58], s[0:1], v[89:90]
	v_mul_f64 v[105:106], v[35:36], s[48:49]
	v_add_f64 v[91:92], v[97:98], v[91:92]
	v_fma_f64 v[97:98], v[55:56], s[16:17], v[101:102]
	v_add_f64 v[99:100], v[99:100], v[113:114]
	v_fma_f64 v[87:88], v[39:40], s[48:49], v[87:88]
	v_add_f64 v[13:14], v[17:18], v[13:14]
	v_fma_f64 v[95:96], v[45:46], s[40:41], -v[95:96]
	v_add_f64 v[17:18], v[19:20], v[15:16]
	v_fma_f64 v[15:16], v[31:32], s[36:37], v[105:106]
	v_mul_f64 v[109:110], v[33:34], s[36:37]
	v_add_f64 v[19:20], v[97:98], v[91:92]
	v_mul_f64 v[91:92], v[43:44], s[38:39]
	v_add_f64 v[87:88], v[87:88], v[99:100]
	v_fma_f64 v[97:98], v[25:26], s[46:47], v[107:108]
	v_add_f64 v[13:14], v[95:96], v[13:14]
	v_fma_f64 v[95:96], v[51:52], s[20:21], -v[103:104]
	v_add_f64 v[15:16], v[15:16], v[115:116]
	v_fma_f64 v[99:100], v[29:30], s[44:45], v[109:110]
	v_mul_f64 v[103:104], v[41:42], s[24:25]
	v_fma_f64 v[107:108], v[37:38], s[24:25], v[91:92]
	v_mul_f64 v[113:114], v[27:28], s[30:31]
	v_add_f64 v[87:88], v[97:98], v[87:88]
	v_fma_f64 v[97:98], v[21:22], s[26:27], v[111:112]
	v_add_f64 v[13:14], v[95:96], v[13:14]
	v_fma_f64 v[89:90], v[57:58], s[0:1], -v[89:90]
	v_add_f64 v[93:94], v[99:100], v[93:94]
	v_fma_f64 v[95:96], v[39:40], s[22:23], v[103:104]
	v_add_f64 v[15:16], v[107:108], v[15:16]
	v_fma_f64 v[99:100], v[45:46], s[0:1], v[113:114]
	v_mul_f64 v[107:108], v[47:48], s[0:1]
	v_add_f64 v[87:88], v[97:98], v[87:88]
	v_mul_f64 v[97:98], v[23:24], s[14:15]
	v_fma_f64 v[101:102], v[55:56], s[30:31], v[101:102]
	v_add_f64 v[13:14], v[89:90], v[13:14]
	v_add_f64 v[89:90], v[95:96], v[93:94]
	v_fma_f64 v[93:94], v[31:32], s[36:37], -v[105:106]
	v_add_f64 v[95:96], v[99:100], v[15:16]
	v_fma_f64 v[99:100], v[25:26], s[16:17], v[107:108]
	v_mul_f64 v[105:106], v[53:54], s[28:29]
	v_fma_f64 v[111:112], v[51:52], s[28:29], v[97:98]
	v_mul_f64 v[115:116], v[61:62], s[34:35]
	v_add_f64 v[15:16], v[101:102], v[87:88]
	v_fma_f64 v[87:88], v[29:30], s[48:49], v[109:110]
	v_add_f64 v[93:94], v[93:94], v[117:118]
	v_fma_f64 v[91:92], v[37:38], s[24:25], -v[91:92]
	v_add_f64 v[89:90], v[99:100], v[89:90]
	v_fma_f64 v[99:100], v[21:22], s[42:43], v[105:106]
	v_add_f64 v[95:96], v[111:112], v[95:96]
	v_fma_f64 v[101:102], v[57:58], s[40:41], v[115:116]
	v_mul_f64 v[109:110], v[59:60], s[40:41]
	v_add_f64 v[111:112], v[87:88], v[119:120]
	v_fma_f64 v[103:104], v[39:40], s[38:39], v[103:104]
	v_add_f64 v[91:92], v[91:92], v[93:94]
	v_fma_f64 v[93:94], v[45:46], s[0:1], -v[113:114]
	v_add_f64 v[89:90], v[99:100], v[89:90]
	v_mul_f64 v[99:100], v[35:36], s[46:47]
	v_add_f64 v[87:88], v[101:102], v[95:96]
	v_fma_f64 v[95:96], v[55:56], s[46:47], v[109:110]
	v_mul_f64 v[101:102], v[33:34], s[40:41]
	v_add_f64 v[103:104], v[103:104], v[111:112]
	v_fma_f64 v[107:108], v[25:26], s[30:31], v[107:108]
	v_add_f64 v[91:92], v[93:94], v[91:92]
	v_fma_f64 v[93:94], v[51:52], s[28:29], -v[97:98]
	v_fma_f64 v[97:98], v[31:32], s[40:41], v[99:100]
	v_mul_f64 v[111:112], v[43:44], s[30:31]
	v_add_f64 v[89:90], v[95:96], v[89:90]
	v_fma_f64 v[95:96], v[29:30], s[34:35], v[101:102]
	v_mul_f64 v[113:114], v[41:42], s[0:1]
	v_add_f64 v[103:104], v[107:108], v[103:104]
	v_fma_f64 v[105:106], v[21:22], s[14:15], v[105:106]
	v_add_f64 v[91:92], v[93:94], v[91:92]
	v_add_f64 v[93:94], v[97:98], v[123:124]
	v_fma_f64 v[97:98], v[37:38], s[0:1], v[111:112]
	v_mul_f64 v[107:108], v[27:28], s[18:19]
	v_add_f64 v[83:84], v[95:96], v[83:84]
	v_fma_f64 v[95:96], v[39:40], s[16:17], v[113:114]
	v_mul_f64 v[117:118], v[47:48], s[20:21]
	v_add_f64 v[103:104], v[105:106], v[103:104]
	v_fma_f64 v[105:106], v[57:58], s[40:41], -v[115:116]
	v_fma_f64 v[109:110], v[55:56], s[34:35], v[109:110]
	v_add_f64 v[97:98], v[97:98], v[93:94]
	v_fma_f64 v[115:116], v[45:46], s[20:21], v[107:108]
	v_mul_f64 v[119:120], v[23:24], s[44:45]
	v_add_f64 v[83:84], v[95:96], v[83:84]
	v_fma_f64 v[95:96], v[25:26], s[26:27], v[117:118]
	v_mul_f64 v[121:122], v[53:54], s[36:37]
	v_fma_f64 v[99:100], v[31:32], s[40:41], -v[99:100]
	v_add_f64 v[91:92], v[105:106], v[91:92]
	v_add_f64 v[93:94], v[109:110], v[103:104]
	;; [unrolled: 1-line block ×3, first 2 shown]
	v_fma_f64 v[103:104], v[51:52], s[36:37], v[119:120]
	v_fma_f64 v[101:102], v[29:30], s[46:47], v[101:102]
	v_add_f64 v[83:84], v[95:96], v[83:84]
	v_fma_f64 v[95:96], v[21:22], s[48:49], v[121:122]
	v_mul_f64 v[105:106], v[61:62], s[42:43]
	v_mul_f64 v[109:110], v[59:60], s[28:29]
	v_add_f64 v[81:82], v[99:100], v[81:82]
	v_fma_f64 v[99:100], v[37:38], s[0:1], -v[111:112]
	v_add_f64 v[97:98], v[103:104], v[97:98]
	v_add_f64 v[79:80], v[101:102], v[79:80]
	v_fma_f64 v[101:102], v[39:40], s[30:31], v[113:114]
	v_add_f64 v[83:84], v[95:96], v[83:84]
	v_fma_f64 v[95:96], v[57:58], s[28:29], v[105:106]
	v_fma_f64 v[103:104], v[55:56], s[14:15], v[109:110]
	v_mul_f64 v[111:112], v[35:36], s[26:27]
	v_add_f64 v[99:100], v[99:100], v[81:82]
	v_fma_f64 v[107:108], v[45:46], s[20:21], -v[107:108]
	v_mul_f64 v[113:114], v[33:34], s[20:21]
	v_add_f64 v[101:102], v[101:102], v[79:80]
	v_fma_f64 v[115:116], v[25:26], s[18:19], v[117:118]
	v_add_f64 v[79:80], v[95:96], v[97:98]
	v_add_f64 v[81:82], v[103:104], v[83:84]
	v_fma_f64 v[83:84], v[31:32], s[20:21], v[111:112]
	v_mul_f64 v[95:96], v[43:44], s[14:15]
	v_add_f64 v[97:98], v[107:108], v[99:100]
	v_fma_f64 v[99:100], v[29:30], s[18:19], v[113:114]
	v_mul_f64 v[103:104], v[41:42], s[28:29]
	v_add_f64 v[101:102], v[115:116], v[101:102]
	v_fma_f64 v[107:108], v[51:52], s[36:37], -v[119:120]
	v_fma_f64 v[115:116], v[21:22], s[44:45], v[121:122]
	v_add_f64 v[75:76], v[83:84], v[75:76]
	v_fma_f64 v[83:84], v[37:38], s[28:29], v[95:96]
	v_mul_f64 v[117:118], v[27:28], s[44:45]
	v_add_f64 v[73:74], v[99:100], v[73:74]
	v_fma_f64 v[99:100], v[39:40], s[42:43], v[103:104]
	v_mul_f64 v[119:120], v[47:48], s[36:37]
	v_add_f64 v[97:98], v[107:108], v[97:98]
	v_add_f64 v[101:102], v[115:116], v[101:102]
	v_fma_f64 v[105:106], v[57:58], s[28:29], -v[105:106]
	v_add_f64 v[75:76], v[83:84], v[75:76]
	v_fma_f64 v[83:84], v[45:46], s[36:37], v[117:118]
	v_fma_f64 v[109:110], v[55:56], s[42:43], v[109:110]
	v_add_f64 v[73:74], v[99:100], v[73:74]
	v_fma_f64 v[99:100], v[25:26], s[48:49], v[119:120]
	v_mul_f64 v[35:36], v[35:36], s[30:31]
	v_mul_f64 v[33:34], v[33:34], s[0:1]
	v_mul_f64 v[43:44], v[43:44], s[34:35]
	v_mul_f64 v[41:42], v[41:42], s[40:41]
	v_add_f64 v[83:84], v[83:84], v[75:76]
	v_add_f64 v[75:76], v[109:110], v[101:102]
	v_fma_f64 v[109:110], v[29:30], s[26:27], v[113:114]
	v_add_f64 v[99:100], v[99:100], v[73:74]
	v_add_f64 v[73:74], v[105:106], v[97:98]
	v_fma_f64 v[105:106], v[31:32], s[20:21], -v[111:112]
	v_fma_f64 v[113:114], v[31:32], s[0:1], v[35:36]
	v_fma_f64 v[31:32], v[31:32], s[0:1], -v[35:36]
	v_fma_f64 v[35:36], v[29:30], s[16:17], v[33:34]
	v_fma_f64 v[29:30], v[29:30], s[30:31], v[33:34]
	v_mul_f64 v[107:108], v[23:24], s[30:31]
	v_mul_f64 v[115:116], v[53:54], s[0:1]
	;; [unrolled: 1-line block ×3, first 2 shown]
	v_add_f64 v[33:34], v[105:106], v[67:68]
	v_add_f64 v[67:68], v[109:110], v[69:70]
	;; [unrolled: 1-line block ×4, first 2 shown]
	v_fma_f64 v[69:70], v[37:38], s[28:29], -v[95:96]
	v_fma_f64 v[71:72], v[39:40], s[14:15], v[103:104]
	v_add_f64 v[31:32], v[31:32], v[65:66]
	v_add_f64 v[29:30], v[29:30], v[77:78]
	v_fma_f64 v[65:66], v[37:38], s[40:41], v[43:44]
	v_fma_f64 v[77:78], v[39:40], s[46:47], v[41:42]
	v_fma_f64 v[37:38], v[37:38], s[40:41], -v[43:44]
	v_fma_f64 v[39:40], v[39:40], s[34:35], v[41:42]
	v_mul_f64 v[43:44], v[47:48], s[28:29]
	v_add_f64 v[33:34], v[69:70], v[33:34]
	v_add_f64 v[41:42], v[71:72], v[67:68]
	v_mul_f64 v[23:24], v[23:24], s[22:23]
	v_add_f64 v[47:48], v[65:66], v[63:64]
	v_add_f64 v[35:36], v[77:78], v[35:36]
	v_fma_f64 v[63:64], v[45:46], s[36:37], -v[117:118]
	v_fma_f64 v[65:66], v[25:26], s[44:45], v[119:120]
	v_add_f64 v[29:30], v[39:40], v[29:30]
	v_fma_f64 v[39:40], v[25:26], s[14:15], v[43:44]
	v_add_f64 v[31:32], v[37:38], v[31:32]
	v_fma_f64 v[37:38], v[45:46], s[28:29], v[27:28]
	v_fma_f64 v[27:28], v[45:46], s[28:29], -v[27:28]
	v_fma_f64 v[25:26], v[25:26], s[42:43], v[43:44]
	v_add_f64 v[33:34], v[63:64], v[33:34]
	v_add_f64 v[41:42], v[65:66], v[41:42]
	v_mul_f64 v[43:44], v[53:54], s[24:25]
	v_add_f64 v[35:36], v[39:40], v[35:36]
	v_fma_f64 v[39:40], v[51:52], s[0:1], -v[107:108]
	v_fma_f64 v[45:46], v[21:22], s[30:31], v[115:116]
	v_fma_f64 v[121:122], v[51:52], s[0:1], v[107:108]
	v_fma_f64 v[123:124], v[21:22], s[16:17], v[115:116]
	v_mul_f64 v[97:98], v[61:62], s[22:23]
	v_mul_f64 v[101:102], v[59:60], s[24:25]
	v_add_f64 v[37:38], v[37:38], v[47:48]
	v_add_f64 v[27:28], v[27:28], v[31:32]
	;; [unrolled: 1-line block ×3, first 2 shown]
	v_fma_f64 v[29:30], v[51:52], s[24:25], v[23:24]
	v_fma_f64 v[31:32], v[21:22], s[38:39], v[43:44]
	;; [unrolled: 1-line block ×3, first 2 shown]
	v_add_f64 v[33:34], v[39:40], v[33:34]
	v_add_f64 v[39:40], v[45:46], v[41:42]
	v_mul_f64 v[41:42], v[61:62], s[26:27]
	v_mul_f64 v[43:44], v[59:60], s[20:21]
	v_fma_f64 v[23:24], v[51:52], s[24:25], -v[23:24]
	v_add_f64 v[83:84], v[121:122], v[83:84]
	v_add_f64 v[99:100], v[123:124], v[99:100]
	v_fma_f64 v[111:112], v[57:58], s[24:25], v[97:98]
	v_fma_f64 v[121:122], v[55:56], s[38:39], v[101:102]
	v_add_f64 v[29:30], v[29:30], v[37:38]
	v_add_f64 v[31:32], v[31:32], v[35:36]
	v_fma_f64 v[45:46], v[57:58], s[20:21], v[41:42]
	v_fma_f64 v[47:48], v[55:56], s[18:19], v[43:44]
	v_add_f64 v[35:36], v[23:24], v[27:28]
	v_add_f64 v[37:38], v[21:22], v[25:26]
	v_fma_f64 v[25:26], v[57:58], s[24:25], -v[97:98]
	v_fma_f64 v[41:42], v[57:58], s[20:21], -v[41:42]
	v_fma_f64 v[43:44], v[55:56], s[26:27], v[43:44]
	v_fma_f64 v[27:28], v[55:56], s[22:23], v[101:102]
	v_add_f64 v[21:22], v[111:112], v[83:84]
	v_add_f64 v[23:24], v[121:122], v[99:100]
	;; [unrolled: 1-line block ×7, first 2 shown]
	v_mad_u32_u24 v37, v86, s12, v85
	v_add_f64 v[27:28], v[27:28], v[39:40]
	ds_write_b128 v37, v[1:4]
	ds_write_b128 v37, v[9:12] offset:192
	ds_write_b128 v37, v[17:20] offset:384
	;; [unrolled: 1-line block ×12, first 2 shown]
	v_mul_lo_u16_e32 v1, 20, v86
	v_mov_b32_e32 v2, 13
	v_mul_lo_u16_sdwa v1, v1, v2 dst_sel:DWORD dst_unused:UNUSED_PAD src0_sel:BYTE_1 src1_sel:DWORD
	v_sub_u16_e32 v79, v86, v1
	v_mov_b32_e32 v1, 12
	v_mul_u32_u24_sdwa v1, v79, v1 dst_sel:DWORD dst_unused:UNUSED_PAD src0_sel:BYTE_0 src1_sel:DWORD
	v_lshlrev_b32_e32 v55, 4, v1
	s_waitcnt lgkmcnt(0)
	s_barrier
	global_load_dwordx4 v[5:8], v55, s[8:9]
	global_load_dwordx4 v[9:12], v55, s[8:9] offset:16
	global_load_dwordx4 v[13:16], v55, s[8:9] offset:32
	;; [unrolled: 1-line block ×9, first 2 shown]
	ds_read_b128 v[45:48], v85 offset:2496
	ds_read_b128 v[1:4], v85
	global_load_dwordx4 v[51:54], v55, s[8:9] offset:160
	ds_read_b128 v[59:62], v85 offset:4992
	ds_read_b128 v[63:66], v85 offset:7488
	global_load_dwordx4 v[55:58], v55, s[8:9] offset:176
	s_mul_i32 s12, s51, s7
	s_waitcnt vmcnt(11) lgkmcnt(3)
	v_mul_f64 v[67:68], v[47:48], v[7:8]
	v_mul_f64 v[7:8], v[45:46], v[7:8]
	s_waitcnt vmcnt(10) lgkmcnt(1)
	v_mul_f64 v[69:70], v[61:62], v[11:12]
	v_mul_f64 v[11:12], v[59:60], v[11:12]
	v_fma_f64 v[45:46], v[45:46], v[5:6], v[67:68]
	v_fma_f64 v[47:48], v[47:48], v[5:6], -v[7:8]
	s_waitcnt vmcnt(9) lgkmcnt(0)
	v_mul_f64 v[67:68], v[65:66], v[15:16]
	v_mul_f64 v[15:16], v[63:64], v[15:16]
	v_fma_f64 v[59:60], v[59:60], v[9:10], v[69:70]
	v_fma_f64 v[61:62], v[61:62], v[9:10], -v[11:12]
	ds_read_b128 v[5:8], v85 offset:9984
	ds_read_b128 v[9:12], v85 offset:12480
	v_add_f64 v[69:70], v[1:2], v[45:46]
	v_add_f64 v[71:72], v[3:4], v[47:48]
	v_fma_f64 v[63:64], v[63:64], v[13:14], v[67:68]
	s_waitcnt vmcnt(8) lgkmcnt(1)
	v_mul_f64 v[73:74], v[7:8], v[19:20]
	v_mul_f64 v[19:20], v[5:6], v[19:20]
	v_fma_f64 v[65:66], v[65:66], v[13:14], -v[15:16]
	v_add_f64 v[67:68], v[69:70], v[59:60]
	v_add_f64 v[13:14], v[71:72], v[61:62]
	s_waitcnt vmcnt(7) lgkmcnt(0)
	v_mul_f64 v[69:70], v[11:12], v[23:24]
	v_mul_f64 v[23:24], v[9:10], v[23:24]
	v_fma_f64 v[71:72], v[5:6], v[17:18], v[73:74]
	v_fma_f64 v[73:74], v[7:8], v[17:18], -v[19:20]
	ds_read_b128 v[5:8], v85 offset:14976
	v_add_f64 v[17:18], v[67:68], v[63:64]
	v_add_f64 v[19:20], v[13:14], v[65:66]
	ds_read_b128 v[13:16], v85 offset:17472
	v_fma_f64 v[80:81], v[9:10], v[21:22], v[69:70]
	s_waitcnt vmcnt(6) lgkmcnt(1)
	v_mul_f64 v[9:10], v[7:8], v[27:28]
	v_fma_f64 v[21:22], v[11:12], v[21:22], -v[23:24]
	v_mul_f64 v[23:24], v[5:6], v[27:28]
	s_waitcnt vmcnt(5) lgkmcnt(0)
	v_mul_f64 v[27:28], v[15:16], v[31:32]
	v_add_f64 v[17:18], v[17:18], v[71:72]
	v_add_f64 v[19:20], v[19:20], v[73:74]
	v_mul_f64 v[31:32], v[13:14], v[31:32]
	v_fma_f64 v[82:83], v[5:6], v[25:26], v[9:10]
	ds_read_b128 v[9:12], v85 offset:19968
	v_fma_f64 v[23:24], v[7:8], v[25:26], -v[23:24]
	ds_read_b128 v[5:8], v85 offset:22464
	v_add_f64 v[17:18], v[17:18], v[80:81]
	v_add_f64 v[19:20], v[19:20], v[21:22]
	s_waitcnt vmcnt(4) lgkmcnt(1)
	v_mul_f64 v[25:26], v[11:12], v[35:36]
	v_fma_f64 v[27:28], v[13:14], v[29:30], v[27:28]
	v_fma_f64 v[31:32], v[15:16], v[29:30], -v[31:32]
	v_mul_f64 v[29:30], v[9:10], v[35:36]
	s_waitcnt vmcnt(3) lgkmcnt(0)
	v_mul_f64 v[35:36], v[7:8], v[39:40]
	v_mul_f64 v[39:40], v[5:6], v[39:40]
	v_add_f64 v[17:18], v[17:18], v[82:83]
	v_add_f64 v[19:20], v[19:20], v[23:24]
	v_fma_f64 v[25:26], v[9:10], v[33:34], v[25:26]
	ds_read_b128 v[13:16], v85 offset:24960
	v_fma_f64 v[75:76], v[11:12], v[33:34], -v[29:30]
	ds_read_b128 v[9:12], v85 offset:27456
	v_fma_f64 v[69:70], v[5:6], v[37:38], v[35:36]
	v_add_f64 v[17:18], v[17:18], v[27:28]
	v_add_f64 v[19:20], v[19:20], v[31:32]
	s_waitcnt vmcnt(2) lgkmcnt(1)
	v_mul_f64 v[29:30], v[15:16], v[43:44]
	v_mul_f64 v[33:34], v[13:14], v[43:44]
	v_fma_f64 v[39:40], v[7:8], v[37:38], -v[39:40]
	ds_read_b128 v[5:8], v85 offset:29952
	v_add_f64 v[17:18], v[17:18], v[25:26]
	v_add_f64 v[19:20], v[19:20], v[75:76]
	v_fma_f64 v[77:78], v[13:14], v[41:42], v[29:30]
	s_waitcnt vmcnt(1) lgkmcnt(1)
	v_mul_f64 v[13:14], v[11:12], v[53:54]
	v_fma_f64 v[43:44], v[15:16], v[41:42], -v[33:34]
	s_waitcnt vmcnt(0) lgkmcnt(0)
	v_mul_f64 v[15:16], v[5:6], v[57:58]
	v_mul_f64 v[29:30], v[9:10], v[53:54]
	v_add_f64 v[17:18], v[17:18], v[69:70]
	v_add_f64 v[19:20], v[19:20], v[39:40]
	v_fma_f64 v[9:10], v[9:10], v[51:52], v[13:14]
	v_mul_f64 v[13:14], v[7:8], v[57:58]
	v_fma_f64 v[15:16], v[7:8], v[55:56], -v[15:16]
	v_fma_f64 v[11:12], v[11:12], v[51:52], -v[29:30]
	v_add_f64 v[7:8], v[17:18], v[77:78]
	v_add_f64 v[17:18], v[19:20], v[43:44]
	v_fma_f64 v[13:14], v[5:6], v[55:56], v[13:14]
	v_add_f64 v[19:20], v[47:48], -v[15:16]
	v_add_f64 v[5:6], v[7:8], v[9:10]
	v_add_f64 v[7:8], v[17:18], v[11:12]
	;; [unrolled: 1-line block ×3, first 2 shown]
	v_mul_f64 v[41:42], v[19:20], s[22:23]
	v_mul_f64 v[29:30], v[19:20], s[16:17]
	;; [unrolled: 1-line block ×3, first 2 shown]
	v_add_f64 v[5:6], v[5:6], v[13:14]
	v_add_f64 v[7:8], v[7:8], v[15:16]
	;; [unrolled: 1-line block ×3, first 2 shown]
	v_add_f64 v[13:14], v[45:46], -v[13:14]
	v_mul_f64 v[35:36], v[19:20], s[18:19]
	v_mul_f64 v[45:46], v[19:20], s[34:35]
	;; [unrolled: 1-line block ×3, first 2 shown]
	v_fma_f64 v[53:54], v[17:18], s[24:25], v[41:42]
	v_fma_f64 v[57:58], v[17:18], s[24:25], -v[41:42]
	v_fma_f64 v[37:38], v[17:18], s[0:1], v[29:30]
	v_mul_f64 v[55:56], v[15:16], s[0:1]
	v_mul_f64 v[41:42], v[15:16], s[28:29]
	v_fma_f64 v[29:30], v[17:18], s[0:1], -v[29:30]
	v_fma_f64 v[47:48], v[17:18], s[28:29], v[33:34]
	v_fma_f64 v[86:87], v[17:18], s[36:37], v[19:20]
	v_fma_f64 v[88:89], v[17:18], s[36:37], -v[19:20]
	v_fma_f64 v[33:34], v[17:18], s[28:29], -v[33:34]
	v_fma_f64 v[51:52], v[17:18], s[20:21], v[35:36]
	v_fma_f64 v[19:20], v[13:14], s[30:31], v[55:56]
	;; [unrolled: 1-line block ×4, first 2 shown]
	v_fma_f64 v[35:36], v[17:18], s[20:21], -v[35:36]
	v_fma_f64 v[67:68], v[17:18], s[40:41], v[45:46]
	v_fma_f64 v[84:85], v[17:18], s[40:41], -v[45:46]
	v_mul_f64 v[17:18], v[15:16], s[20:21]
	v_mul_f64 v[45:46], v[15:16], s[24:25]
	;; [unrolled: 1-line block ×3, first 2 shown]
	v_add_f64 v[106:107], v[3:4], v[19:20]
	v_add_f64 v[116:117], v[3:4], v[41:42]
	v_add_f64 v[19:20], v[61:62], -v[11:12]
	v_add_f64 v[41:42], v[61:62], v[11:12]
	v_mul_f64 v[15:16], v[15:16], s[36:37]
	v_fma_f64 v[94:95], v[13:14], s[26:27], v[17:18]
	v_fma_f64 v[17:18], v[13:14], s[18:19], v[17:18]
	;; [unrolled: 1-line block ×5, first 2 shown]
	v_add_f64 v[112:113], v[1:2], v[47:48]
	v_add_f64 v[114:115], v[1:2], v[33:34]
	;; [unrolled: 1-line block ×5, first 2 shown]
	v_add_f64 v[33:34], v[59:60], -v[9:10]
	v_mul_f64 v[9:10], v[19:20], s[14:15]
	v_mul_f64 v[11:12], v[41:42], s[28:29]
	v_add_f64 v[51:52], v[65:66], -v[43:44]
	v_add_f64 v[47:48], v[65:66], v[43:44]
	v_fma_f64 v[55:56], v[13:14], s[16:17], v[55:56]
	v_fma_f64 v[90:91], v[13:14], s[34:35], v[90:91]
	;; [unrolled: 1-line block ×4, first 2 shown]
	v_add_f64 v[104:105], v[1:2], v[37:38]
	v_add_f64 v[108:109], v[1:2], v[29:30]
	;; [unrolled: 1-line block ×7, first 2 shown]
	v_fma_f64 v[57:58], v[35:36], s[28:29], v[9:10]
	v_fma_f64 v[59:60], v[33:34], s[42:43], v[11:12]
	v_add_f64 v[43:44], v[63:64], v[77:78]
	v_add_f64 v[45:46], v[63:64], -v[77:78]
	v_mul_f64 v[96:97], v[51:52], s[18:19]
	v_mul_f64 v[98:99], v[47:48], s[20:21]
	v_add_f64 v[63:64], v[73:74], -v[39:40]
	v_add_f64 v[61:62], v[73:74], v[39:40]
	v_add_f64 v[110:111], v[3:4], v[55:56]
	;; [unrolled: 1-line block ×7, first 2 shown]
	v_fma_f64 v[84:85], v[43:44], s[20:21], v[96:97]
	v_fma_f64 v[90:91], v[45:46], s[26:27], v[98:99]
	v_add_f64 v[57:58], v[71:72], v[69:70]
	v_add_f64 v[59:60], v[71:72], -v[69:70]
	v_mul_f64 v[104:105], v[63:64], s[22:23]
	v_mul_f64 v[106:107], v[61:62], s[24:25]
	v_add_f64 v[77:78], v[21:22], -v[75:76]
	v_add_f64 v[75:76], v[21:22], v[75:76]
	v_add_f64 v[39:40], v[84:85], v[39:40]
	v_add_f64 v[84:85], v[90:91], v[73:74]
	v_add_f64 v[92:93], v[3:4], v[92:93]
	v_add_f64 v[94:95], v[3:4], v[94:95]
	v_fma_f64 v[21:22], v[57:58], s[24:25], v[104:105]
	v_fma_f64 v[90:91], v[59:60], s[38:39], v[106:107]
	v_add_f64 v[67:68], v[1:2], v[67:68]
	v_add_f64 v[69:70], v[1:2], v[86:87]
	;; [unrolled: 1-line block ×4, first 2 shown]
	v_mul_f64 v[100:101], v[77:78], s[34:35]
	v_add_f64 v[88:89], v[1:2], v[88:89]
	v_add_f64 v[102:103], v[3:4], v[102:103]
	v_add_f64 v[71:72], v[80:81], -v[25:26]
	v_mul_f64 v[1:2], v[75:76], s[40:41]
	v_fma_f64 v[3:4], v[35:36], s[28:29], -v[9:10]
	v_add_f64 v[9:10], v[21:22], v[39:40]
	v_add_f64 v[21:22], v[90:91], v[84:85]
	v_add_f64 v[80:81], v[23:24], -v[31:32]
	v_add_f64 v[84:85], v[23:24], v[31:32]
	v_fma_f64 v[11:12], v[33:34], s[14:15], v[11:12]
	v_fma_f64 v[25:26], v[73:74], s[40:41], v[100:101]
	;; [unrolled: 1-line block ×3, first 2 shown]
	v_add_f64 v[3:4], v[3:4], v[108:109]
	v_fma_f64 v[31:32], v[43:44], s[20:21], -v[96:97]
	v_add_f64 v[90:91], v[82:83], v[27:28]
	v_add_f64 v[82:83], v[82:83], -v[27:28]
	v_mul_f64 v[27:28], v[80:81], s[48:49]
	v_mul_f64 v[39:40], v[84:85], s[36:37]
	v_add_f64 v[11:12], v[11:12], v[110:111]
	v_fma_f64 v[96:97], v[45:46], s[18:19], v[98:99]
	v_add_f64 v[9:10], v[25:26], v[9:10]
	v_add_f64 v[3:4], v[31:32], v[3:4]
	v_fma_f64 v[25:26], v[57:58], s[24:25], -v[104:105]
	v_add_f64 v[23:24], v[23:24], v[21:22]
	v_fma_f64 v[21:22], v[90:91], s[36:37], v[27:28]
	v_mul_f64 v[31:32], v[19:20], s[22:23]
	v_fma_f64 v[98:99], v[82:83], s[44:45], v[39:40]
	v_add_f64 v[11:12], v[96:97], v[11:12]
	v_fma_f64 v[96:97], v[59:60], s[22:23], v[106:107]
	v_mul_f64 v[104:105], v[41:42], s[24:25]
	v_add_f64 v[3:4], v[25:26], v[3:4]
	v_fma_f64 v[25:26], v[73:74], s[40:41], -v[100:101]
	v_add_f64 v[21:22], v[21:22], v[9:10]
	v_fma_f64 v[9:10], v[35:36], s[24:25], v[31:32]
	v_mul_f64 v[100:101], v[51:52], s[48:49]
	v_add_f64 v[23:24], v[98:99], v[23:24]
	v_add_f64 v[11:12], v[96:97], v[11:12]
	v_fma_f64 v[96:97], v[33:34], s[38:39], v[104:105]
	v_mul_f64 v[98:99], v[47:48], s[36:37]
	v_fma_f64 v[1:2], v[71:72], s[34:35], v[1:2]
	v_add_f64 v[3:4], v[25:26], v[3:4]
	v_add_f64 v[9:10], v[9:10], v[112:113]
	v_fma_f64 v[25:26], v[43:44], s[36:37], v[100:101]
	v_mul_f64 v[106:107], v[63:64], s[46:47]
	v_fma_f64 v[27:28], v[90:91], s[36:37], -v[27:28]
	v_add_f64 v[92:93], v[96:97], v[92:93]
	v_fma_f64 v[96:97], v[45:46], s[44:45], v[98:99]
	v_mul_f64 v[108:109], v[61:62], s[40:41]
	v_add_f64 v[11:12], v[1:2], v[11:12]
	v_fma_f64 v[39:40], v[82:83], s[48:49], v[39:40]
	v_add_f64 v[9:10], v[25:26], v[9:10]
	v_fma_f64 v[25:26], v[57:58], s[40:41], v[106:107]
	v_mul_f64 v[110:111], v[77:78], s[26:27]
	v_add_f64 v[1:2], v[27:28], v[3:4]
	v_add_f64 v[27:28], v[96:97], v[92:93]
	v_fma_f64 v[92:93], v[59:60], s[34:35], v[108:109]
	v_mul_f64 v[96:97], v[75:76], s[20:21]
	v_add_f64 v[3:4], v[39:40], v[11:12]
	v_fma_f64 v[11:12], v[35:36], s[24:25], -v[31:32]
	v_add_f64 v[9:10], v[25:26], v[9:10]
	v_fma_f64 v[25:26], v[73:74], s[20:21], v[110:111]
	v_mul_f64 v[31:32], v[80:81], s[30:31]
	v_fma_f64 v[39:40], v[33:34], s[22:23], v[104:105]
	v_add_f64 v[27:28], v[92:93], v[27:28]
	v_fma_f64 v[92:93], v[71:72], s[18:19], v[96:97]
	v_mul_f64 v[104:105], v[84:85], s[0:1]
	v_add_f64 v[11:12], v[11:12], v[114:115]
	v_fma_f64 v[100:101], v[43:44], s[36:37], -v[100:101]
	v_add_f64 v[9:10], v[25:26], v[9:10]
	v_fma_f64 v[25:26], v[90:91], s[0:1], v[31:32]
	v_add_f64 v[39:40], v[39:40], v[116:117]
	v_fma_f64 v[98:99], v[45:46], s[48:49], v[98:99]
	;; [unrolled: 2-line block ×3, first 2 shown]
	v_mul_f64 v[112:113], v[19:20], s[48:49]
	v_add_f64 v[11:12], v[100:101], v[11:12]
	v_fma_f64 v[100:101], v[57:58], s[40:41], -v[106:107]
	v_mul_f64 v[106:107], v[41:42], s[36:37]
	v_add_f64 v[25:26], v[25:26], v[9:10]
	v_add_f64 v[9:10], v[98:99], v[39:40]
	v_fma_f64 v[39:40], v[59:60], s[46:47], v[108:109]
	v_add_f64 v[27:28], v[92:93], v[27:28]
	v_fma_f64 v[92:93], v[35:36], s[36:37], v[112:113]
	v_mul_f64 v[98:99], v[51:52], s[38:39]
	v_add_f64 v[11:12], v[100:101], v[11:12]
	v_fma_f64 v[100:101], v[73:74], s[20:21], -v[110:111]
	v_fma_f64 v[108:109], v[33:34], s[44:45], v[106:107]
	v_mul_f64 v[110:111], v[47:48], s[24:25]
	v_add_f64 v[9:10], v[39:40], v[9:10]
	v_fma_f64 v[39:40], v[71:72], s[26:27], v[96:97]
	v_add_f64 v[92:93], v[92:93], v[118:119]
	v_fma_f64 v[96:97], v[43:44], s[24:25], v[98:99]
	v_mul_f64 v[114:115], v[63:64], s[30:31]
	v_add_f64 v[11:12], v[100:101], v[11:12]
	v_add_f64 v[94:95], v[108:109], v[94:95]
	v_fma_f64 v[100:101], v[45:46], s[22:23], v[110:111]
	v_mul_f64 v[108:109], v[61:62], s[0:1]
	v_add_f64 v[39:40], v[39:40], v[9:10]
	v_fma_f64 v[9:10], v[90:91], s[0:1], -v[31:32]
	v_add_f64 v[31:32], v[96:97], v[92:93]
	v_fma_f64 v[92:93], v[57:58], s[0:1], v[114:115]
	v_mul_f64 v[96:97], v[77:78], s[14:15]
	v_fma_f64 v[104:105], v[82:83], s[30:31], v[104:105]
	v_add_f64 v[94:95], v[100:101], v[94:95]
	v_fma_f64 v[100:101], v[59:60], s[16:17], v[108:109]
	v_mul_f64 v[116:117], v[75:76], s[28:29]
	v_add_f64 v[9:10], v[9:10], v[11:12]
	v_fma_f64 v[98:99], v[43:44], s[24:25], -v[98:99]
	v_add_f64 v[31:32], v[92:93], v[31:32]
	v_fma_f64 v[92:93], v[73:74], s[28:29], v[96:97]
	v_add_f64 v[11:12], v[104:105], v[39:40]
	v_fma_f64 v[39:40], v[35:36], s[36:37], -v[112:113]
	v_add_f64 v[94:95], v[100:101], v[94:95]
	v_fma_f64 v[100:101], v[71:72], s[42:43], v[116:117]
	v_mul_f64 v[104:105], v[80:81], s[34:35]
	v_mul_f64 v[112:113], v[84:85], s[40:41]
	;; [unrolled: 1-line block ×3, first 2 shown]
	v_add_f64 v[31:32], v[92:93], v[31:32]
	v_fma_f64 v[92:93], v[33:34], s[48:49], v[106:107]
	v_add_f64 v[39:40], v[39:40], v[120:121]
	v_mul_f64 v[120:121], v[41:42], s[40:41]
	v_add_f64 v[94:95], v[100:101], v[94:95]
	v_fma_f64 v[100:101], v[90:91], s[40:41], v[104:105]
	v_fma_f64 v[106:107], v[82:83], s[46:47], v[112:113]
	;; [unrolled: 1-line block ×3, first 2 shown]
	v_fma_f64 v[96:97], v[73:74], s[28:29], -v[96:97]
	v_add_f64 v[92:93], v[92:93], v[29:30]
	v_add_f64 v[39:40], v[98:99], v[39:40]
	v_fma_f64 v[98:99], v[57:58], s[0:1], -v[114:115]
	v_mul_f64 v[114:115], v[61:62], s[20:21]
	v_add_f64 v[29:30], v[100:101], v[31:32]
	v_add_f64 v[31:32], v[106:107], v[94:95]
	v_fma_f64 v[94:95], v[35:36], s[40:41], v[118:119]
	v_fma_f64 v[100:101], v[33:34], s[34:35], v[120:121]
	v_mul_f64 v[106:107], v[51:52], s[30:31]
	v_add_f64 v[92:93], v[110:111], v[92:93]
	v_mul_f64 v[110:111], v[47:48], s[0:1]
	v_add_f64 v[39:40], v[98:99], v[39:40]
	v_fma_f64 v[98:99], v[59:60], s[30:31], v[108:109]
	v_mul_f64 v[122:123], v[75:76], s[36:37]
	v_add_f64 v[13:14], v[94:95], v[13:14]
	v_add_f64 v[15:16], v[100:101], v[15:16]
	v_fma_f64 v[94:95], v[43:44], s[0:1], v[106:107]
	v_mul_f64 v[100:101], v[63:64], s[18:19]
	v_fma_f64 v[108:109], v[45:46], s[16:17], v[110:111]
	v_add_f64 v[39:40], v[96:97], v[39:40]
	v_add_f64 v[92:93], v[98:99], v[92:93]
	v_fma_f64 v[96:97], v[71:72], s[14:15], v[116:117]
	v_fma_f64 v[98:99], v[90:91], s[40:41], -v[104:105]
	v_mul_f64 v[116:117], v[77:78], s[44:45]
	v_add_f64 v[94:95], v[94:95], v[13:14]
	v_fma_f64 v[104:105], v[57:58], s[20:21], v[100:101]
	v_add_f64 v[15:16], v[108:109], v[15:16]
	v_fma_f64 v[108:109], v[59:60], s[26:27], v[114:115]
	v_fma_f64 v[100:101], v[57:58], s[20:21], -v[100:101]
	v_add_f64 v[92:93], v[96:97], v[92:93]
	v_fma_f64 v[96:97], v[82:83], s[34:35], v[112:113]
	v_add_f64 v[13:14], v[98:99], v[39:40]
	v_mul_f64 v[112:113], v[80:81], s[42:43]
	v_add_f64 v[39:40], v[104:105], v[94:95]
	v_fma_f64 v[94:95], v[35:36], s[40:41], -v[118:119]
	v_fma_f64 v[104:105], v[73:74], s[36:37], v[116:117]
	v_add_f64 v[98:99], v[108:109], v[15:16]
	v_fma_f64 v[108:109], v[71:72], s[48:49], v[122:123]
	v_add_f64 v[15:16], v[96:97], v[92:93]
	v_fma_f64 v[92:93], v[33:34], s[46:47], v[120:121]
	v_mul_f64 v[96:97], v[84:85], s[28:29]
	v_mul_f64 v[118:119], v[51:52], s[14:15]
	v_add_f64 v[37:38], v[94:95], v[37:38]
	v_fma_f64 v[94:95], v[43:44], s[0:1], -v[106:107]
	v_add_f64 v[39:40], v[104:105], v[39:40]
	v_fma_f64 v[104:105], v[90:91], s[28:29], v[112:113]
	v_mul_f64 v[106:107], v[19:20], s[26:27]
	v_add_f64 v[98:99], v[108:109], v[98:99]
	v_add_f64 v[17:18], v[92:93], v[17:18]
	v_fma_f64 v[92:93], v[45:46], s[30:31], v[110:111]
	v_fma_f64 v[108:109], v[82:83], s[14:15], v[96:97]
	v_add_f64 v[94:95], v[94:95], v[37:38]
	v_mul_f64 v[110:111], v[41:42], s[20:21]
	v_add_f64 v[37:38], v[104:105], v[39:40]
	v_fma_f64 v[104:105], v[35:36], s[20:21], v[106:107]
	v_mul_f64 v[120:121], v[77:78], s[30:31]
	v_fma_f64 v[96:97], v[82:83], s[42:43], v[96:97]
	v_add_f64 v[17:18], v[92:93], v[17:18]
	v_fma_f64 v[92:93], v[59:60], s[18:19], v[114:115]
	v_add_f64 v[39:40], v[108:109], v[98:99]
	v_add_f64 v[94:95], v[100:101], v[94:95]
	v_fma_f64 v[98:99], v[33:34], s[18:19], v[110:111]
	v_mul_f64 v[100:101], v[47:48], s[28:29]
	v_add_f64 v[67:68], v[104:105], v[67:68]
	v_fma_f64 v[104:105], v[43:44], s[28:29], v[118:119]
	v_mul_f64 v[108:109], v[63:64], s[44:45]
	v_add_f64 v[17:18], v[92:93], v[17:18]
	v_fma_f64 v[92:93], v[73:74], s[36:37], -v[116:117]
	v_fma_f64 v[114:115], v[71:72], s[44:45], v[122:123]
	v_add_f64 v[65:66], v[98:99], v[65:66]
	v_fma_f64 v[98:99], v[45:46], s[42:43], v[100:101]
	v_mul_f64 v[116:117], v[61:62], s[36:37]
	v_add_f64 v[67:68], v[104:105], v[67:68]
	v_fma_f64 v[104:105], v[57:58], s[36:37], v[108:109]
	v_mul_f64 v[51:52], v[51:52], s[34:35]
	v_add_f64 v[92:93], v[92:93], v[94:95]
	v_add_f64 v[94:95], v[114:115], v[17:18]
	v_fma_f64 v[17:18], v[90:91], s[28:29], -v[112:113]
	v_add_f64 v[65:66], v[98:99], v[65:66]
	v_fma_f64 v[98:99], v[59:60], s[48:49], v[116:117]
	v_mul_f64 v[112:113], v[75:76], s[0:1]
	v_add_f64 v[67:68], v[104:105], v[67:68]
	v_fma_f64 v[104:105], v[73:74], s[0:1], v[120:121]
	v_mul_f64 v[114:115], v[80:81], s[22:23]
	v_mul_f64 v[47:48], v[47:48], s[40:41]
	v_add_f64 v[17:18], v[17:18], v[92:93]
	v_add_f64 v[65:66], v[98:99], v[65:66]
	v_fma_f64 v[98:99], v[71:72], s[16:17], v[112:113]
	v_add_f64 v[67:68], v[104:105], v[67:68]
	v_fma_f64 v[92:93], v[90:91], s[24:25], v[114:115]
	v_mul_f64 v[104:105], v[19:20], s[30:31]
	v_add_f64 v[19:20], v[96:97], v[94:95]
	v_mul_f64 v[94:95], v[41:42], s[0:1]
	v_mul_f64 v[96:97], v[84:85], s[24:25]
	v_add_f64 v[65:66], v[98:99], v[65:66]
	v_fma_f64 v[98:99], v[35:36], s[20:21], -v[106:107]
	v_fma_f64 v[106:107], v[33:34], s[26:27], v[110:111]
	v_add_f64 v[41:42], v[92:93], v[67:68]
	v_fma_f64 v[67:68], v[35:36], s[0:1], v[104:105]
	v_fma_f64 v[35:36], v[35:36], s[0:1], -v[104:105]
	v_fma_f64 v[92:93], v[33:34], s[16:17], v[94:95]
	v_fma_f64 v[33:34], v[33:34], s[30:31], v[94:95]
	;; [unrolled: 1-line block ×3, first 2 shown]
	v_add_f64 v[53:54], v[98:99], v[53:54]
	v_add_f64 v[55:56], v[106:107], v[55:56]
	v_fma_f64 v[104:105], v[82:83], s[38:39], v[96:97]
	v_add_f64 v[67:68], v[67:68], v[69:70]
	v_add_f64 v[35:36], v[35:36], v[88:89]
	;; [unrolled: 1-line block ×3, first 2 shown]
	v_fma_f64 v[86:87], v[43:44], s[28:29], -v[118:119]
	v_fma_f64 v[92:93], v[45:46], s[14:15], v[100:101]
	v_add_f64 v[33:34], v[33:34], v[102:103]
	v_fma_f64 v[88:89], v[43:44], s[40:41], v[51:52]
	v_fma_f64 v[43:44], v[43:44], s[40:41], -v[51:52]
	v_fma_f64 v[45:46], v[45:46], s[34:35], v[47:48]
	v_add_f64 v[47:48], v[86:87], v[53:54]
	v_add_f64 v[51:52], v[92:93], v[55:56]
	v_mul_f64 v[53:54], v[63:64], s[42:43]
	v_mul_f64 v[55:56], v[61:62], s[28:29]
	v_add_f64 v[61:62], v[88:89], v[67:68]
	v_add_f64 v[63:64], v[94:95], v[69:70]
	v_fma_f64 v[67:68], v[57:58], s[36:37], -v[108:109]
	v_add_f64 v[35:36], v[43:44], v[35:36]
	v_add_f64 v[33:34], v[45:46], v[33:34]
	v_fma_f64 v[43:44], v[59:60], s[44:45], v[116:117]
	v_fma_f64 v[45:46], v[57:58], s[28:29], v[53:54]
	;; [unrolled: 1-line block ×3, first 2 shown]
	v_fma_f64 v[53:54], v[57:58], s[28:29], -v[53:54]
	v_fma_f64 v[55:56], v[59:60], s[42:43], v[55:56]
	v_mul_f64 v[57:58], v[77:78], s[22:23]
	v_mul_f64 v[59:60], v[75:76], s[24:25]
	v_add_f64 v[47:48], v[67:68], v[47:48]
	v_add_f64 v[51:52], v[43:44], v[51:52]
	;; [unrolled: 1-line block ×4, first 2 shown]
	v_fma_f64 v[63:64], v[73:74], s[0:1], -v[120:121]
	v_fma_f64 v[67:68], v[71:72], s[30:31], v[112:113]
	v_add_f64 v[35:36], v[53:54], v[35:36]
	v_fma_f64 v[53:54], v[73:74], s[24:25], v[57:58]
	v_fma_f64 v[69:70], v[71:72], s[38:39], v[59:60]
	v_fma_f64 v[57:58], v[73:74], s[24:25], -v[57:58]
	v_add_f64 v[43:44], v[104:105], v[65:66]
	v_add_f64 v[33:34], v[55:56], v[33:34]
	;; [unrolled: 1-line block ×4, first 2 shown]
	v_mul_f64 v[55:56], v[80:81], s[26:27]
	v_add_f64 v[45:46], v[53:54], v[45:46]
	v_add_f64 v[53:54], v[69:70], v[61:62]
	;; [unrolled: 1-line block ×3, first 2 shown]
	v_fma_f64 v[35:36], v[71:72], s[22:23], v[59:60]
	v_fma_f64 v[59:60], v[90:91], s[24:25], -v[114:115]
	v_fma_f64 v[61:62], v[82:83], s[22:23], v[96:97]
	v_mul_f64 v[65:66], v[84:85], s[20:21]
	v_fma_f64 v[63:64], v[90:91], s[20:21], v[55:56]
	s_movk_i32 s0, 0xa9
	v_mul_lo_u16_sdwa v0, v0, s0 dst_sel:DWORD dst_unused:UNUSED_PAD src0_sel:WORD_1 src1_sel:DWORD
	s_lshl_b64 s[0:1], s[10:11], 4
	v_add_f64 v[67:68], v[35:36], v[33:34]
	v_add_f64 v[33:34], v[59:60], v[47:48]
	;; [unrolled: 1-line block ×3, first 2 shown]
	v_fma_f64 v[47:48], v[82:83], s[18:19], v[65:66]
	v_fma_f64 v[51:52], v[90:91], s[20:21], -v[55:56]
	v_fma_f64 v[55:56], v[82:83], s[26:27], v[65:66]
	v_addc_co_u32_e64 v59, s[8:9], 0, 0, vcc
	v_mul_lo_u32 v61, v59, s4
	v_mul_lo_u32 v62, v49, s5
	v_mad_u64_u32 v[59:60], s[4:5], v49, s4, 0
	v_add_u32_sdwa v0, v79, v0 dst_sel:DWORD dst_unused:UNUSED_PAD src0_sel:BYTE_0 src1_sel:DWORD
	s_add_u32 s2, s2, s0
	v_add3_u32 v60, v60, v62, v61
	v_mul_lo_u32 v49, v0, s6
	s_addc_u32 s3, s3, s1
	s_lshl_b64 s[0:1], s[12:13], 4
	v_add_f64 v[47:48], v[47:48], v[53:54]
	v_add_f64 v[52:53], v[51:52], v[57:58]
	;; [unrolled: 1-line block ×3, first 2 shown]
	s_add_u32 s0, s2, s0
	v_lshlrev_b64 v[56:57], 4, v[59:60]
	s_addc_u32 s1, s3, s1
	v_mov_b32_e32 v51, s1
	v_add_co_u32_e32 v0, vcc, s0, v56
	v_addc_co_u32_e32 v51, vcc, v51, v57, vcc
	v_lshlrev_b64 v[56:57], 4, v[49:50]
	s_mul_i32 s0, s6, 13
	v_add_co_u32_e32 v56, vcc, v0, v56
	v_addc_co_u32_e32 v57, vcc, v51, v57, vcc
	v_add_u32_e32 v49, s0, v49
	global_store_dwordx4 v[56:57], v[5:8], off
	v_add_f64 v[45:46], v[63:64], v[45:46]
	v_lshlrev_b64 v[5:6], 4, v[49:50]
	v_add_u32_e32 v49, s0, v49
	v_add_co_u32_e32 v5, vcc, v0, v5
	v_addc_co_u32_e32 v6, vcc, v51, v6, vcc
	global_store_dwordx4 v[5:6], v[21:24], off
	v_lshlrev_b64 v[5:6], 4, v[49:50]
	v_add_u32_e32 v49, s0, v49
	v_add_co_u32_e32 v5, vcc, v0, v5
	v_addc_co_u32_e32 v6, vcc, v51, v6, vcc
	global_store_dwordx4 v[5:6], v[25:28], off
	;; [unrolled: 5-line block ×11, first 2 shown]
	v_lshlrev_b64 v[5:6], 4, v[49:50]
	v_add_co_u32_e32 v5, vcc, v0, v5
	v_addc_co_u32_e32 v6, vcc, v51, v6, vcc
	global_store_dwordx4 v[5:6], v[1:4], off
	s_endpgm
	.section	.rodata,"a",@progbits
	.p2align	6, 0x0
	.amdhsa_kernel fft_rtc_back_len169_factors_13_13_wgs_156_tpt_13_dp_op_CI_CI_sbrc_xy_z_diag_dirReg
		.amdhsa_group_segment_fixed_size 0
		.amdhsa_private_segment_fixed_size 0
		.amdhsa_kernarg_size 104
		.amdhsa_user_sgpr_count 6
		.amdhsa_user_sgpr_private_segment_buffer 1
		.amdhsa_user_sgpr_dispatch_ptr 0
		.amdhsa_user_sgpr_queue_ptr 0
		.amdhsa_user_sgpr_kernarg_segment_ptr 1
		.amdhsa_user_sgpr_dispatch_id 0
		.amdhsa_user_sgpr_flat_scratch_init 0
		.amdhsa_user_sgpr_private_segment_size 0
		.amdhsa_uses_dynamic_stack 0
		.amdhsa_system_sgpr_private_segment_wavefront_offset 0
		.amdhsa_system_sgpr_workgroup_id_x 1
		.amdhsa_system_sgpr_workgroup_id_y 0
		.amdhsa_system_sgpr_workgroup_id_z 0
		.amdhsa_system_sgpr_workgroup_info 0
		.amdhsa_system_vgpr_workitem_id 0
		.amdhsa_next_free_vgpr 125
		.amdhsa_next_free_sgpr 52
		.amdhsa_reserve_vcc 1
		.amdhsa_reserve_flat_scratch 0
		.amdhsa_float_round_mode_32 0
		.amdhsa_float_round_mode_16_64 0
		.amdhsa_float_denorm_mode_32 3
		.amdhsa_float_denorm_mode_16_64 3
		.amdhsa_dx10_clamp 1
		.amdhsa_ieee_mode 1
		.amdhsa_fp16_overflow 0
		.amdhsa_exception_fp_ieee_invalid_op 0
		.amdhsa_exception_fp_denorm_src 0
		.amdhsa_exception_fp_ieee_div_zero 0
		.amdhsa_exception_fp_ieee_overflow 0
		.amdhsa_exception_fp_ieee_underflow 0
		.amdhsa_exception_fp_ieee_inexact 0
		.amdhsa_exception_int_div_zero 0
	.end_amdhsa_kernel
	.text
.Lfunc_end0:
	.size	fft_rtc_back_len169_factors_13_13_wgs_156_tpt_13_dp_op_CI_CI_sbrc_xy_z_diag_dirReg, .Lfunc_end0-fft_rtc_back_len169_factors_13_13_wgs_156_tpt_13_dp_op_CI_CI_sbrc_xy_z_diag_dirReg
                                        ; -- End function
	.section	.AMDGPU.csdata,"",@progbits
; Kernel info:
; codeLenInByte = 10324
; NumSgprs: 56
; NumVgprs: 125
; ScratchSize: 0
; MemoryBound: 0
; FloatMode: 240
; IeeeMode: 1
; LDSByteSize: 0 bytes/workgroup (compile time only)
; SGPRBlocks: 6
; VGPRBlocks: 31
; NumSGPRsForWavesPerEU: 56
; NumVGPRsForWavesPerEU: 125
; Occupancy: 2
; WaveLimiterHint : 1
; COMPUTE_PGM_RSRC2:SCRATCH_EN: 0
; COMPUTE_PGM_RSRC2:USER_SGPR: 6
; COMPUTE_PGM_RSRC2:TRAP_HANDLER: 0
; COMPUTE_PGM_RSRC2:TGID_X_EN: 1
; COMPUTE_PGM_RSRC2:TGID_Y_EN: 0
; COMPUTE_PGM_RSRC2:TGID_Z_EN: 0
; COMPUTE_PGM_RSRC2:TIDIG_COMP_CNT: 0
	.type	__hip_cuid_aa493289bf17323,@object ; @__hip_cuid_aa493289bf17323
	.section	.bss,"aw",@nobits
	.globl	__hip_cuid_aa493289bf17323
__hip_cuid_aa493289bf17323:
	.byte	0                               ; 0x0
	.size	__hip_cuid_aa493289bf17323, 1

	.ident	"AMD clang version 19.0.0git (https://github.com/RadeonOpenCompute/llvm-project roc-6.4.0 25133 c7fe45cf4b819c5991fe208aaa96edf142730f1d)"
	.section	".note.GNU-stack","",@progbits
	.addrsig
	.addrsig_sym __hip_cuid_aa493289bf17323
	.amdgpu_metadata
---
amdhsa.kernels:
  - .args:
      - .actual_access:  read_only
        .address_space:  global
        .offset:         0
        .size:           8
        .value_kind:     global_buffer
      - .offset:         8
        .size:           8
        .value_kind:     by_value
      - .actual_access:  read_only
        .address_space:  global
        .offset:         16
        .size:           8
        .value_kind:     global_buffer
      - .actual_access:  read_only
        .address_space:  global
        .offset:         24
        .size:           8
        .value_kind:     global_buffer
      - .actual_access:  read_only
        .address_space:  global
        .offset:         32
        .size:           8
        .value_kind:     global_buffer
      - .offset:         40
        .size:           8
        .value_kind:     by_value
      - .actual_access:  read_only
        .address_space:  global
        .offset:         48
        .size:           8
        .value_kind:     global_buffer
      - .actual_access:  read_only
        .address_space:  global
        .offset:         56
        .size:           8
        .value_kind:     global_buffer
      - .offset:         64
        .size:           4
        .value_kind:     by_value
      - .actual_access:  read_only
        .address_space:  global
        .offset:         72
        .size:           8
        .value_kind:     global_buffer
      - .actual_access:  read_only
        .address_space:  global
        .offset:         80
        .size:           8
        .value_kind:     global_buffer
      - .actual_access:  read_only
        .address_space:  global
        .offset:         88
        .size:           8
        .value_kind:     global_buffer
      - .actual_access:  write_only
        .address_space:  global
        .offset:         96
        .size:           8
        .value_kind:     global_buffer
    .group_segment_fixed_size: 0
    .kernarg_segment_align: 8
    .kernarg_segment_size: 104
    .language:       OpenCL C
    .language_version:
      - 2
      - 0
    .max_flat_workgroup_size: 156
    .name:           fft_rtc_back_len169_factors_13_13_wgs_156_tpt_13_dp_op_CI_CI_sbrc_xy_z_diag_dirReg
    .private_segment_fixed_size: 0
    .sgpr_count:     56
    .sgpr_spill_count: 0
    .symbol:         fft_rtc_back_len169_factors_13_13_wgs_156_tpt_13_dp_op_CI_CI_sbrc_xy_z_diag_dirReg.kd
    .uniform_work_group_size: 1
    .uses_dynamic_stack: false
    .vgpr_count:     125
    .vgpr_spill_count: 0
    .wavefront_size: 64
amdhsa.target:   amdgcn-amd-amdhsa--gfx906
amdhsa.version:
  - 1
  - 2
...

	.end_amdgpu_metadata
